;; amdgpu-corpus repo=ROCm/rocFFT kind=compiled arch=gfx1201 opt=O3
	.text
	.amdgcn_target "amdgcn-amd-amdhsa--gfx1201"
	.amdhsa_code_object_version 6
	.protected	bluestein_single_back_len300_dim1_sp_op_CI_CI ; -- Begin function bluestein_single_back_len300_dim1_sp_op_CI_CI
	.globl	bluestein_single_back_len300_dim1_sp_op_CI_CI
	.p2align	8
	.type	bluestein_single_back_len300_dim1_sp_op_CI_CI,@function
bluestein_single_back_len300_dim1_sp_op_CI_CI: ; @bluestein_single_back_len300_dim1_sp_op_CI_CI
; %bb.0:
	s_load_b128 s[12:15], s[0:1], 0x28
	v_mul_u32_u24_e32 v1, 0x889, v0
	v_mov_b32_e32 v53, 0
	s_mov_b32 s2, exec_lo
	s_delay_alu instid0(VALU_DEP_2) | instskip(NEXT) | instid1(VALU_DEP_1)
	v_lshrrev_b32_e32 v1, 16, v1
	v_lshl_add_u32 v52, ttmp9, 1, v1
	s_wait_kmcnt 0x0
	s_delay_alu instid0(VALU_DEP_1)
	v_cmpx_gt_u64_e64 s[12:13], v[52:53]
	s_cbranch_execz .LBB0_10
; %bb.1:
	s_clause 0x1
	s_load_b128 s[4:7], s[0:1], 0x18
	s_load_b128 s[8:11], s[0:1], 0x0
	v_mul_lo_u16 v2, v1, 30
	s_delay_alu instid0(VALU_DEP_1)
	v_sub_nc_u16 v16, v0, v2
	s_wait_kmcnt 0x0
	s_load_b128 s[16:19], s[4:5], 0x0
	s_wait_kmcnt 0x0
	v_mad_co_u64_u32 v[2:3], null, s18, v52, 0
	v_and_b32_e32 v81, 0xffff, v16
	s_mul_u64 s[2:3], s[16:17], 0xf0
	s_delay_alu instid0(VALU_DEP_2) | instskip(NEXT) | instid1(VALU_DEP_2)
	v_mov_b32_e32 v0, v3
	v_mad_co_u64_u32 v[4:5], null, s16, v81, 0
	v_lshlrev_b32_e32 v84, 3, v81
	s_clause 0x3
	global_load_b64 v[61:62], v84, s[8:9]
	global_load_b64 v[63:64], v84, s[8:9] offset:240
	global_load_b64 v[67:68], v84, s[8:9] offset:480
	;; [unrolled: 1-line block ×3, first 2 shown]
	v_mov_b32_e32 v3, v5
	v_mad_co_u64_u32 v[5:6], null, s19, v52, v[0:1]
	s_clause 0x3
	global_load_b64 v[57:58], v84, s[8:9] offset:960
	global_load_b64 v[59:60], v84, s[8:9] offset:1200
	;; [unrolled: 1-line block ×4, first 2 shown]
	v_mad_co_u64_u32 v[6:7], null, s17, v81, v[3:4]
	v_mov_b32_e32 v3, v5
	s_delay_alu instid0(VALU_DEP_2) | instskip(NEXT) | instid1(VALU_DEP_2)
	v_mov_b32_e32 v5, v6
	v_lshlrev_b64_e32 v[2:3], 3, v[2:3]
	s_delay_alu instid0(VALU_DEP_2) | instskip(NEXT) | instid1(VALU_DEP_2)
	v_lshlrev_b64_e32 v[4:5], 3, v[4:5]
	v_add_co_u32 v0, vcc_lo, s14, v2
	s_delay_alu instid0(VALU_DEP_3) | instskip(NEXT) | instid1(VALU_DEP_2)
	v_add_co_ci_u32_e32 v3, vcc_lo, s15, v3, vcc_lo
	v_add_co_u32 v2, vcc_lo, v0, v4
	s_wait_alu 0xfffd
	s_delay_alu instid0(VALU_DEP_2) | instskip(SKIP_1) | instid1(VALU_DEP_3)
	v_add_co_ci_u32_e32 v3, vcc_lo, v3, v5, vcc_lo
	v_and_b32_e32 v0, 1, v1
	v_add_co_u32 v4, vcc_lo, v2, s2
	s_wait_alu 0xfffd
	s_delay_alu instid0(VALU_DEP_3)
	v_add_co_ci_u32_e32 v5, vcc_lo, s3, v3, vcc_lo
	global_load_b64 v[2:3], v[2:3], off
	v_add_co_u32 v6, vcc_lo, v4, s2
	s_wait_alu 0xfffd
	v_add_co_ci_u32_e32 v7, vcc_lo, s3, v5, vcc_lo
	v_and_b32_e32 v1, 0xff, v16
	s_delay_alu instid0(VALU_DEP_3) | instskip(SKIP_1) | instid1(VALU_DEP_3)
	v_add_co_u32 v8, vcc_lo, v6, s2
	s_wait_alu 0xfffd
	v_add_co_ci_u32_e32 v9, vcc_lo, s3, v7, vcc_lo
	s_delay_alu instid0(VALU_DEP_2) | instskip(SKIP_1) | instid1(VALU_DEP_2)
	v_add_co_u32 v10, vcc_lo, v8, s2
	s_wait_alu 0xfffd
	v_add_co_ci_u32_e32 v11, vcc_lo, s3, v9, vcc_lo
	s_clause 0x2
	global_load_b64 v[4:5], v[4:5], off
	global_load_b64 v[6:7], v[6:7], off
	;; [unrolled: 1-line block ×3, first 2 shown]
	v_add_co_u32 v12, vcc_lo, v10, s2
	s_wait_alu 0xfffd
	v_add_co_ci_u32_e32 v13, vcc_lo, s3, v11, vcc_lo
	global_load_b64 v[10:11], v[10:11], off
	v_add_co_u32 v14, vcc_lo, v12, s2
	s_wait_alu 0xfffd
	v_add_co_ci_u32_e32 v15, vcc_lo, s3, v13, vcc_lo
	global_load_b64 v[12:13], v[12:13], off
	v_add_co_u32 v17, vcc_lo, v14, s2
	s_wait_alu 0xfffd
	v_add_co_ci_u32_e32 v18, vcc_lo, s3, v15, vcc_lo
	global_load_b64 v[14:15], v[14:15], off
	v_add_co_u32 v19, vcc_lo, v17, s2
	s_wait_alu 0xfffd
	v_add_co_ci_u32_e32 v20, vcc_lo, s3, v18, vcc_lo
	global_load_b64 v[17:18], v[17:18], off
	v_add_co_u32 v21, vcc_lo, v19, s2
	s_wait_alu 0xfffd
	v_add_co_ci_u32_e32 v22, vcc_lo, s3, v20, vcc_lo
	global_load_b64 v[19:20], v[19:20], off
	s_clause 0x1
	global_load_b64 v[69:70], v84, s[8:9] offset:1920
	global_load_b64 v[71:72], v84, s[8:9] offset:2160
	global_load_b64 v[21:22], v[21:22], off
	v_cmp_eq_u32_e32 vcc_lo, 1, v0
	s_load_b128 s[4:7], s[6:7], 0x0
	s_load_b64 s[2:3], s[0:1], 0x38
	v_cndmask_b32_e64 v0, 0, 0x12c, vcc_lo
	v_cmp_gt_u16_e32 vcc_lo, 10, v16
	s_delay_alu instid0(VALU_DEP_2) | instskip(SKIP_1) | instid1(VALU_DEP_1)
	v_lshlrev_b32_e32 v86, 3, v0
	v_mul_lo_u16 v0, 0xcd, v1
	v_lshrrev_b16 v25, 11, v0
	s_delay_alu instid0(VALU_DEP_1) | instskip(SKIP_4) | instid1(VALU_DEP_2)
	v_mul_lo_u16 v26, v25, 10
	s_wait_loadcnt 0xb
	v_dual_mul_f32 v0, v3, v62 :: v_dual_and_b32 v25, 0xffff, v25
	v_mul_f32_e32 v1, v2, v62
	s_wait_loadcnt 0xa
	v_dual_fmac_f32 v0, v2, v61 :: v_dual_mul_f32 v23, v5, v64
	v_add_nc_u32_e32 v82, v86, v84
	v_mul_f32_e32 v24, v4, v64
	s_wait_loadcnt 0x9
	v_mul_f32_e32 v2, v7, v68
	v_fma_f32 v1, v3, v61, -v1
	v_fmac_f32_e32 v23, v4, v63
	v_add_nc_u32_e32 v33, 0x400, v82
	s_wait_loadcnt 0x8
	v_dual_mul_f32 v3, v6, v68 :: v_dual_mul_f32 v4, v9, v54
	v_fma_f32 v24, v5, v63, -v24
	v_dual_fmac_f32 v2, v6, v67 :: v_dual_mul_f32 v5, v8, v54
	s_wait_loadcnt 0x7
	v_mul_f32_e32 v6, v11, v58
	v_fma_f32 v3, v7, v67, -v3
	v_dual_mul_f32 v7, v10, v58 :: v_dual_fmac_f32 v4, v8, v53
	s_wait_loadcnt 0x6
	v_mul_f32_e32 v8, v13, v60
	v_fma_f32 v5, v9, v53, -v5
	v_dual_mul_f32 v9, v12, v60 :: v_dual_fmac_f32 v6, v10, v57
	v_fma_f32 v7, v11, v57, -v7
	s_wait_loadcnt 0x5
	v_mul_f32_e32 v10, v15, v66
	v_dual_mul_f32 v11, v14, v66 :: v_dual_fmac_f32 v8, v12, v59
	s_wait_loadcnt 0x4
	v_mul_f32_e32 v12, v18, v56
	v_fma_f32 v9, v13, v59, -v9
	v_mul_f32_e32 v13, v17, v56
	s_wait_loadcnt 0x0
	v_mul_f32_e32 v27, v21, v72
	v_fma_f32 v11, v15, v65, -v11
	v_dual_fmac_f32 v12, v17, v55 :: v_dual_mul_f32 v17, v22, v72
	v_fmac_f32_e32 v10, v14, v65
	v_mul_f32_e32 v14, v20, v70
	v_mul_f32_e32 v15, v19, v70
	v_fma_f32 v13, v18, v55, -v13
	v_fmac_f32_e32 v17, v21, v71
	v_fma_f32 v18, v22, v71, -v27
	v_mul_lo_u16 v21, v16, 10
	v_sub_nc_u16 v22, v16, v26
	v_fmac_f32_e32 v14, v19, v69
	v_fma_f32 v15, v20, v69, -v15
	s_delay_alu instid0(VALU_DEP_4) | instskip(NEXT) | instid1(VALU_DEP_4)
	v_and_b32_e32 v21, 0xffff, v21
	v_and_b32_e32 v29, 0xff, v22
	ds_store_2addr_b64 v82, v[0:1], v[23:24] offset1:30
	ds_store_2addr_b64 v82, v[2:3], v[4:5] offset0:60 offset1:90
	ds_store_2addr_b64 v82, v[6:7], v[8:9] offset0:120 offset1:150
	;; [unrolled: 1-line block ×4, first 2 shown]
	global_wb scope:SCOPE_SE
	s_wait_dscnt 0x0
	s_wait_kmcnt 0x0
	s_barrier_signal -1
	s_barrier_wait -1
	global_inv scope:SCOPE_SE
	ds_load_2addr_b64 v[0:3], v82 offset1:30
	ds_load_2addr_b64 v[4:7], v82 offset0:60 offset1:90
	ds_load_2addr_b64 v[8:11], v82 offset0:120 offset1:150
	;; [unrolled: 1-line block ×4, first 2 shown]
	v_lshl_add_u32 v85, v21, 3, v86
	v_mad_co_u64_u32 v[21:22], null, 0x48, v29, s[10:11]
	global_wb scope:SCOPE_SE
	s_wait_dscnt 0x0
	s_barrier_signal -1
	s_barrier_wait -1
	global_inv scope:SCOPE_SE
	v_add_f32_e32 v23, v0, v4
	v_sub_f32_e32 v28, v4, v8
	v_dual_add_f32 v24, v8, v12 :: v_dual_add_f32 v35, v1, v5
	v_sub_f32_e32 v26, v5, v18
	v_dual_sub_f32 v30, v17, v12 :: v_dual_add_f32 v31, v4, v17
	v_sub_f32_e32 v32, v8, v4
	v_dual_sub_f32 v34, v12, v17 :: v_dual_sub_f32 v41, v13, v18
	v_dual_add_f32 v36, v9, v13 :: v_dual_sub_f32 v37, v8, v12
	v_dual_sub_f32 v38, v5, v9 :: v_dual_sub_f32 v45, v11, v15
	v_dual_add_f32 v40, v5, v18 :: v_dual_add_f32 v51, v3, v7
	v_dual_sub_f32 v5, v9, v5 :: v_dual_add_f32 v42, v2, v6
	v_add_f32_e32 v73, v11, v15
	v_sub_f32_e32 v27, v9, v13
	v_dual_sub_f32 v4, v4, v17 :: v_dual_add_f32 v43, v10, v14
	v_dual_sub_f32 v39, v18, v13 :: v_dual_sub_f32 v44, v7, v20
	v_sub_f32_e32 v49, v10, v6
	v_dual_sub_f32 v46, v6, v10 :: v_dual_sub_f32 v75, v7, v11
	v_dual_sub_f32 v47, v19, v14 :: v_dual_add_f32 v48, v6, v19
	v_dual_sub_f32 v50, v14, v19 :: v_dual_add_f32 v77, v7, v20
	;; [unrolled: 1-line block ×3, first 2 shown]
	v_dual_sub_f32 v74, v10, v14 :: v_dual_sub_f32 v7, v11, v7
	v_sub_f32_e32 v76, v20, v15
	v_sub_f32_e32 v78, v15, v20
	v_add_f32_e32 v8, v23, v8
	v_fma_f32 v23, -0.5, v24, v0
	v_dual_add_f32 v24, v28, v30 :: v_dual_add_f32 v11, v51, v11
	v_fma_f32 v28, -0.5, v31, v0
	v_add_f32_e32 v0, v32, v34
	v_fma_f32 v30, -0.5, v36, v1
	v_fma_f32 v32, -0.5, v40, v1
	v_add_f32_e32 v1, v5, v41
	v_add_f32_e32 v5, v42, v10
	;; [unrolled: 1-line block ×3, first 2 shown]
	v_dual_add_f32 v7, v7, v78 :: v_dual_add_f32 v8, v8, v12
	v_dual_fmamk_f32 v12, v26, 0x3f737871, v23 :: v_dual_add_f32 v9, v9, v13
	v_fmamk_f32 v39, v27, 0xbf737871, v28
	v_dual_fmac_f32 v28, 0x3f737871, v27 :: v_dual_add_f32 v5, v5, v14
	v_fmamk_f32 v13, v4, 0xbf737871, v30
	v_dual_fmac_f32 v30, 0x3f737871, v4 :: v_dual_add_f32 v11, v11, v15
	v_fmamk_f32 v40, v37, 0x3f737871, v32
	v_fma_f32 v10, -0.5, v43, v2
	v_fma_f32 v2, -0.5, v48, v2
	;; [unrolled: 1-line block ×3, first 2 shown]
	v_dual_add_f32 v38, v75, v76 :: v_dual_fmac_f32 v23, 0xbf737871, v26
	v_fmac_f32_e32 v3, -0.5, v77
	v_fmac_f32_e32 v32, 0xbf737871, v37
	v_add_f32_e32 v8, v8, v17
	v_dual_fmac_f32 v12, 0x3f167918, v27 :: v_dual_fmac_f32 v39, 0x3f167918, v26
	v_dual_fmac_f32 v40, 0xbf167918, v4 :: v_dual_fmac_f32 v23, 0xbf167918, v27
	v_fmac_f32_e32 v28, 0xbf167918, v26
	v_dual_add_f32 v34, v46, v47 :: v_dual_add_f32 v35, v49, v50
	s_delay_alu instid0(VALU_DEP_3)
	v_dual_fmac_f32 v39, 0x3e9e377a, v0 :: v_dual_fmac_f32 v40, 0x3e9e377a, v1
	v_fmamk_f32 v42, v74, 0x3f737871, v3
	v_fmac_f32_e32 v3, 0xbf737871, v74
	v_fmac_f32_e32 v32, 0x3f167918, v4
	v_add_f32_e32 v4, v5, v19
	v_fmamk_f32 v41, v45, 0xbf737871, v2
	v_fmamk_f32 v15, v6, 0xbf737871, v36
	v_fmac_f32_e32 v28, 0x3e9e377a, v0
	v_dual_fmamk_f32 v14, v44, 0x3f737871, v10 :: v_dual_add_f32 v9, v9, v18
	v_add_f32_e32 v0, v8, v4
	v_dual_fmac_f32 v30, 0x3f167918, v37 :: v_dual_fmac_f32 v41, 0x3f167918, v44
	v_dual_add_f32 v5, v11, v20 :: v_dual_fmac_f32 v36, 0x3f737871, v6
	v_fmac_f32_e32 v3, 0x3f167918, v6
	v_fmac_f32_e32 v13, 0xbf167918, v37
	s_delay_alu instid0(VALU_DEP_4) | instskip(SKIP_4) | instid1(VALU_DEP_3)
	v_fmac_f32_e32 v41, 0x3e9e377a, v35
	v_fmac_f32_e32 v42, 0xbf167918, v6
	v_dual_sub_f32 v6, v8, v4 :: v_dual_fmac_f32 v15, 0xbf167918, v74
	v_dual_fmac_f32 v32, 0x3e9e377a, v1 :: v_dual_fmac_f32 v3, 0x3e9e377a, v7
	v_dual_fmac_f32 v12, 0x3e9e377a, v24 :: v_dual_fmac_f32 v13, 0x3e9e377a, v31
	v_fmac_f32_e32 v15, 0x3e9e377a, v38
	v_fmac_f32_e32 v14, 0x3f167918, v45
	v_dual_fmac_f32 v23, 0x3e9e377a, v24 :: v_dual_fmac_f32 v30, 0x3e9e377a, v31
	v_dual_fmac_f32 v10, 0xbf737871, v44 :: v_dual_add_f32 v1, v9, v5
	s_delay_alu instid0(VALU_DEP_3) | instskip(SKIP_2) | instid1(VALU_DEP_3)
	v_fmac_f32_e32 v14, 0x3e9e377a, v34
	v_mul_f32_e32 v8, 0x3e9e377a, v3
	v_mul_f32_e32 v24, 0xbf737871, v41
	;; [unrolled: 1-line block ×3, first 2 shown]
	s_delay_alu instid0(VALU_DEP_1) | instskip(SKIP_1) | instid1(VALU_DEP_2)
	v_dual_mul_f32 v17, 0x3f4f1bbd, v14 :: v_dual_fmac_f32 v20, 0x3f4f1bbd, v15
	v_fmac_f32_e32 v2, 0x3f737871, v45
	v_fmac_f32_e32 v17, 0x3f167918, v15
	s_delay_alu instid0(VALU_DEP_2) | instskip(NEXT) | instid1(VALU_DEP_1)
	v_fmac_f32_e32 v2, 0xbf167918, v44
	v_fmac_f32_e32 v2, 0x3e9e377a, v35
	s_delay_alu instid0(VALU_DEP_1)
	v_mul_f32_e32 v4, 0x3e9e377a, v2
	v_fma_f32 v27, 0xbf737871, v2, -v8
	v_fmac_f32_e32 v10, 0xbf167918, v45
	v_add_f32_e32 v2, v12, v17
	v_sub_f32_e32 v12, v12, v17
	v_fma_f32 v19, 0x3f737871, v3, -v4
	s_delay_alu instid0(VALU_DEP_4) | instskip(SKIP_2) | instid1(VALU_DEP_4)
	v_dual_add_f32 v11, v32, v27 :: v_dual_fmac_f32 v10, 0x3e9e377a, v34
	v_add_f32_e32 v3, v13, v20
	v_sub_f32_e32 v13, v13, v20
	v_sub_f32_e32 v17, v28, v19
	v_dual_fmac_f32 v42, 0x3e9e377a, v7 :: v_dual_sub_f32 v7, v9, v5
	v_fmac_f32_e32 v36, 0x3f167918, v74
	v_mul_f32_e32 v5, 0x3f4f1bbd, v10
	s_delay_alu instid0(VALU_DEP_3) | instskip(NEXT) | instid1(VALU_DEP_1)
	v_fmac_f32_e32 v24, 0x3e9e377a, v42
	v_dual_fmac_f32 v36, 0x3e9e377a, v38 :: v_dual_sub_f32 v15, v40, v24
	s_delay_alu instid0(VALU_DEP_1) | instskip(NEXT) | instid1(VALU_DEP_1)
	v_mul_f32_e32 v9, 0x3f4f1bbd, v36
	v_fma_f32 v31, 0xbf167918, v10, -v9
	v_add_f32_e32 v10, v28, v19
	v_fma_f32 v26, 0x3f167918, v36, -v5
	v_add_f32_e32 v9, v40, v24
	s_delay_alu instid0(VALU_DEP_4) | instskip(SKIP_1) | instid1(VALU_DEP_4)
	v_add_f32_e32 v5, v30, v31
	v_sub_f32_e32 v20, v30, v31
	v_add_f32_e32 v4, v23, v26
	v_mul_u32_u24_e32 v30, 0x64, v25
	v_sub_f32_e32 v19, v23, v26
	s_delay_alu instid0(VALU_DEP_2) | instskip(NEXT) | instid1(VALU_DEP_1)
	v_dual_mul_f32 v18, 0x3f737871, v42 :: v_dual_add_nc_u32 v37, v30, v29
	v_lshl_add_u32 v83, v37, 3, v86
	s_delay_alu instid0(VALU_DEP_2) | instskip(NEXT) | instid1(VALU_DEP_1)
	v_fmac_f32_e32 v18, 0x3e9e377a, v41
	v_add_f32_e32 v8, v39, v18
	v_sub_f32_e32 v14, v39, v18
	v_sub_f32_e32 v18, v32, v27
	ds_store_b128 v85, v[0:3]
	ds_store_b128 v85, v[8:11] offset:16
	ds_store_b128 v85, v[4:7] offset:32
	;; [unrolled: 1-line block ×4, first 2 shown]
	global_wb scope:SCOPE_SE
	s_wait_dscnt 0x0
	s_barrier_signal -1
	s_barrier_wait -1
	global_inv scope:SCOPE_SE
	s_clause 0x4
	global_load_b128 v[12:15], v[21:22], off
	global_load_b128 v[8:11], v[21:22], off offset:16
	global_load_b128 v[4:7], v[21:22], off offset:32
	;; [unrolled: 1-line block ×3, first 2 shown]
	global_load_b64 v[73:74], v[21:22], off offset:64
	ds_load_2addr_b64 v[17:20], v82 offset1:30
	ds_load_2addr_b64 v[21:24], v82 offset0:60 offset1:90
	ds_load_2addr_b64 v[25:28], v82 offset0:120 offset1:150
	;; [unrolled: 1-line block ×4, first 2 shown]
	global_wb scope:SCOPE_SE
	s_wait_loadcnt_dscnt 0x0
	s_barrier_signal -1
	s_barrier_wait -1
	global_inv scope:SCOPE_SE
	v_mul_f32_e32 v37, v20, v13
	v_mul_f32_e32 v39, v22, v15
	;; [unrolled: 1-line block ×7, first 2 shown]
	v_dual_mul_f32 v75, v33, v3 :: v_dual_mul_f32 v38, v19, v13
	v_mul_f32_e32 v45, v28, v5
	v_mul_f32_e32 v49, v32, v1
	v_fma_f32 v37, v19, v12, -v37
	s_delay_alu instid0(VALU_DEP_4)
	v_dual_fmac_f32 v75, v34, v2 :: v_dual_fmac_f32 v38, v20, v12
	v_fma_f32 v19, v21, v14, -v39
	v_mul_f32_e32 v40, v21, v15
	v_mul_f32_e32 v42, v23, v9
	v_fma_f32 v20, v23, v8, -v41
	v_fma_f32 v21, v25, v10, -v43
	v_fma_f32 v23, v29, v6, -v47
	v_mul_f32_e32 v44, v25, v11
	v_fma_f32 v25, v33, v2, -v51
	v_dual_mul_f32 v48, v29, v7 :: v_dual_fmac_f32 v77, v36, v73
	s_delay_alu instid0(VALU_DEP_4) | instskip(NEXT) | instid1(VALU_DEP_3)
	v_dual_mul_f32 v76, v36, v74 :: v_dual_sub_f32 v41, v21, v23
	v_dual_add_f32 v33, v19, v25 :: v_dual_fmac_f32 v40, v22, v14
	v_mul_f32_e32 v46, v27, v5
	v_fmac_f32_e32 v44, v26, v10
	v_mul_f32_e32 v50, v31, v1
	v_fma_f32 v22, v27, v4, -v45
	v_dual_add_f32 v27, v17, v19 :: v_dual_fmac_f32 v42, v24, v8
	v_fma_f32 v24, v31, v0, -v49
	v_dual_sub_f32 v31, v19, v21 :: v_dual_sub_f32 v34, v21, v19
	v_dual_sub_f32 v19, v19, v25 :: v_dual_fmac_f32 v48, v30, v6
	v_fma_f32 v26, v35, v73, -v76
	v_sub_f32_e32 v35, v23, v25
	v_fma_f32 v33, -0.5, v33, v17
	v_sub_f32_e32 v89, v22, v20
	v_sub_f32_e32 v45, v75, v48
	v_add_f32_e32 v47, v40, v75
	v_sub_f32_e32 v43, v40, v44
	v_add_f32_e32 v39, v44, v48
	v_fmac_f32_e32 v50, v32, v0
	v_dual_sub_f32 v29, v40, v75 :: v_dual_add_f32 v36, v18, v40
	v_sub_f32_e32 v49, v48, v75
	v_sub_f32_e32 v87, v26, v24
	s_delay_alu instid0(VALU_DEP_4) | instskip(SKIP_3) | instid1(VALU_DEP_3)
	v_dual_sub_f32 v95, v77, v50 :: v_dual_fmac_f32 v46, v28, v4
	v_add_f32_e32 v28, v21, v23
	v_dual_add_f32 v51, v37, v20 :: v_dual_sub_f32 v78, v42, v77
	v_dual_sub_f32 v32, v25, v23 :: v_dual_sub_f32 v93, v22, v24
	v_fma_f32 v98, -0.5, v28, v17
	v_dual_add_f32 v17, v27, v21 :: v_dual_sub_f32 v30, v44, v48
	v_sub_f32_e32 v97, v50, v77
	v_sub_f32_e32 v79, v46, v50
	v_add_f32_e32 v91, v38, v42
	v_dual_add_f32 v92, v46, v50 :: v_dual_add_f32 v27, v36, v44
	v_sub_f32_e32 v94, v42, v46
	v_dual_sub_f32 v40, v44, v40 :: v_dual_add_f32 v21, v34, v35
	v_add_f32_e32 v76, v22, v24
	v_dual_sub_f32 v90, v24, v26 :: v_dual_add_f32 v17, v17, v23
	v_fma_f32 v47, -0.5, v47, v18
	v_dual_add_f32 v28, v43, v45 :: v_dual_fmamk_f32 v45, v30, 0xbf737871, v33
	v_dual_add_f32 v23, v27, v48 :: v_dual_add_f32 v88, v20, v26
	v_dual_add_f32 v43, v94, v95 :: v_dual_sub_f32 v80, v20, v22
	v_sub_f32_e32 v20, v20, v26
	v_add_f32_e32 v22, v51, v22
	v_dual_add_f32 v96, v42, v77 :: v_dual_add_f32 v35, v89, v90
	v_fma_f32 v39, -0.5, v39, v18
	v_dual_add_f32 v18, v31, v32 :: v_dual_fmac_f32 v33, 0x3f737871, v30
	v_add_f32_e32 v31, v40, v49
	v_fma_f32 v40, -0.5, v92, v38
	v_add_f32_e32 v36, v91, v46
	v_fmamk_f32 v48, v41, 0x3f737871, v47
	v_dual_fmac_f32 v47, 0xbf737871, v41 :: v_dual_add_f32 v22, v22, v24
	v_fmac_f32_e32 v45, 0x3f167918, v29
	v_fmamk_f32 v44, v29, 0x3f737871, v98
	v_sub_f32_e32 v42, v46, v42
	v_fma_f32 v32, -0.5, v76, v37
	v_fmac_f32_e32 v37, -0.5, v88
	v_dual_fmac_f32 v38, -0.5, v96 :: v_dual_add_f32 v25, v17, v25
	v_fmamk_f32 v46, v19, 0xbf737871, v39
	v_fmac_f32_e32 v39, 0x3f737871, v19
	v_fmamk_f32 v49, v20, 0xbf737871, v40
	v_dual_add_f32 v36, v36, v50 :: v_dual_fmac_f32 v33, 0xbf167918, v29
	v_fmac_f32_e32 v48, 0xbf167918, v19
	v_fmac_f32_e32 v47, 0x3f167918, v19
	s_delay_alu instid0(VALU_DEP_3) | instskip(SKIP_3) | instid1(VALU_DEP_2)
	v_dual_add_f32 v19, v22, v26 :: v_dual_add_f32 v22, v36, v77
	v_fmac_f32_e32 v98, 0xbf737871, v29
	v_dual_fmac_f32 v44, 0x3f167918, v30 :: v_dual_fmac_f32 v39, 0x3f167918, v41
	v_dual_add_f32 v34, v80, v87 :: v_dual_fmamk_f32 v27, v79, 0xbf737871, v37
	v_dual_fmac_f32 v45, 0x3e9e377a, v21 :: v_dual_fmac_f32 v44, 0x3e9e377a, v18
	v_fmamk_f32 v50, v93, 0x3f737871, v38
	v_dual_add_f32 v17, v25, v19 :: v_dual_fmac_f32 v98, 0xbf167918, v30
	v_fmac_f32_e32 v49, 0xbf167918, v93
	v_dual_add_f32 v42, v42, v97 :: v_dual_add_f32 v23, v23, v75
	v_fmac_f32_e32 v37, 0x3f737871, v79
	s_delay_alu instid0(VALU_DEP_4)
	v_dual_fmac_f32 v98, 0x3e9e377a, v18 :: v_dual_fmac_f32 v33, 0x3e9e377a, v21
	v_fmac_f32_e32 v40, 0x3f737871, v20
	v_fmac_f32_e32 v38, 0xbf737871, v93
	v_fmac_f32_e32 v27, 0x3f167918, v78
	v_dual_fmac_f32 v39, 0x3e9e377a, v28 :: v_dual_fmac_f32 v48, 0x3e9e377a, v31
	v_dual_fmac_f32 v50, 0xbf167918, v20 :: v_dual_fmac_f32 v37, 0xbf167918, v78
	v_fmac_f32_e32 v40, 0x3f167918, v93
	v_fmac_f32_e32 v38, 0x3f167918, v20
	s_delay_alu instid0(VALU_DEP_3) | instskip(SKIP_1) | instid1(VALU_DEP_3)
	v_dual_fmac_f32 v27, 0x3e9e377a, v35 :: v_dual_fmac_f32 v50, 0x3e9e377a, v42
	v_dual_sub_f32 v19, v25, v19 :: v_dual_fmac_f32 v46, 0xbf167918, v41
	v_dual_fmac_f32 v37, 0x3e9e377a, v35 :: v_dual_fmac_f32 v38, 0x3e9e377a, v42
	s_delay_alu instid0(VALU_DEP_3) | instskip(SKIP_1) | instid1(VALU_DEP_3)
	v_mul_f32_e32 v30, 0x3f737871, v50
	v_fmac_f32_e32 v40, 0x3e9e377a, v43
	v_dual_sub_f32 v20, v23, v22 :: v_dual_mul_f32 v21, 0x3e9e377a, v37
	v_add_f32_e32 v18, v23, v22
	s_delay_alu instid0(VALU_DEP_4) | instskip(SKIP_3) | instid1(VALU_DEP_4)
	v_dual_mul_f32 v23, 0x3e9e377a, v38 :: v_dual_fmac_f32 v30, 0x3e9e377a, v27
	v_fmamk_f32 v24, v78, 0x3f737871, v32
	v_dual_fmac_f32 v32, 0xbf737871, v78 :: v_dual_mul_f32 v35, 0xbf737871, v27
	v_dual_fmac_f32 v46, 0x3e9e377a, v28 :: v_dual_fmac_f32 v47, 0x3e9e377a, v31
	v_fma_f32 v37, 0xbf737871, v37, -v23
	s_delay_alu instid0(VALU_DEP_3) | instskip(SKIP_2) | instid1(VALU_DEP_4)
	v_fmac_f32_e32 v32, 0xbf167918, v79
	v_fmac_f32_e32 v49, 0x3e9e377a, v43
	v_mul_f32_e32 v25, 0x3f4f1bbd, v40
	v_dual_add_f32 v23, v45, v30 :: v_dual_add_f32 v26, v47, v37
	s_delay_alu instid0(VALU_DEP_4) | instskip(NEXT) | instid1(VALU_DEP_4)
	v_dual_sub_f32 v37, v47, v37 :: v_dual_fmac_f32 v32, 0x3e9e377a, v34
	v_dual_fmac_f32 v24, 0x3f167918, v79 :: v_dual_mul_f32 v29, 0x3f167918, v49
	v_fma_f32 v36, 0x3f737871, v38, -v21
	v_add_co_u32 v75, s0, s8, v84
	s_delay_alu instid0(VALU_DEP_4) | instskip(SKIP_2) | instid1(VALU_DEP_2)
	v_mul_f32_e32 v22, 0x3f4f1bbd, v32
	s_wait_alu 0xf1ff
	v_add_co_ci_u32_e64 v76, null, s9, 0, s0
                                        ; implicit-def: $vgpr77
	v_fma_f32 v38, 0x3f167918, v40, -v22
	v_fma_f32 v40, 0xbf167918, v32, -v25
	v_dual_fmac_f32 v24, 0x3e9e377a, v34 :: v_dual_add_f32 v25, v33, v36
	s_delay_alu instid0(VALU_DEP_3) | instskip(NEXT) | instid1(VALU_DEP_3)
	v_dual_sub_f32 v36, v33, v36 :: v_dual_add_f32 v27, v98, v38
	v_sub_f32_e32 v33, v39, v40
	s_delay_alu instid0(VALU_DEP_3) | instskip(SKIP_3) | instid1(VALU_DEP_4)
	v_mul_f32_e32 v31, 0xbf167918, v24
	v_fmac_f32_e32 v29, 0x3f4f1bbd, v24
	v_add_f32_e32 v28, v39, v40
	v_sub_f32_e32 v34, v45, v30
	v_dual_sub_f32 v32, v98, v38 :: v_dual_fmac_f32 v31, 0x3f4f1bbd, v49
	v_fmac_f32_e32 v35, 0x3e9e377a, v50
	v_add_f32_e32 v21, v44, v29
	s_delay_alu instid0(VALU_DEP_3) | instskip(NEXT) | instid1(VALU_DEP_3)
	v_dual_sub_f32 v29, v44, v29 :: v_dual_add_f32 v22, v46, v31
	v_add_f32_e32 v24, v48, v35
	v_sub_f32_e32 v30, v46, v31
	v_sub_f32_e32 v35, v48, v35
	ds_store_2addr_b64 v83, v[17:18], v[21:22] offset1:10
	ds_store_2addr_b64 v83, v[23:24], v[25:26] offset0:20 offset1:30
	ds_store_2addr_b64 v83, v[27:28], v[19:20] offset0:40 offset1:50
	;; [unrolled: 1-line block ×4, first 2 shown]
	global_wb scope:SCOPE_SE
	s_wait_dscnt 0x0
	s_barrier_signal -1
	s_barrier_wait -1
	global_inv scope:SCOPE_SE
	ds_load_2addr_b64 v[40:43], v82 offset1:30
	ds_load_2addr_b64 v[36:39], v82 offset0:60 offset1:100
	ds_load_2addr_b64 v[44:47], v82 offset0:200 offset1:230
	;; [unrolled: 1-line block ×3, first 2 shown]
	ds_load_b64 v[79:80], v82 offset:2080
	s_and_saveexec_b32 s0, vcc_lo
	s_cbranch_execz .LBB0_3
; %bb.2:
	ds_load_2addr_b64 v[32:35], v82 offset0:90 offset1:190
	ds_load_b64 v[77:78], v82 offset:2320
.LBB0_3:
	s_wait_alu 0xfffe
	s_or_b32 exec_lo, exec_lo, s0
	v_lshlrev_b32_e32 v16, 4, v81
	v_lshl_add_u32 v86, v81, 3, v86
	global_load_b128 v[24:27], v16, s[10:11] offset:720
	v_add_nc_u32_e32 v17, 0x1e0, v16
	s_wait_loadcnt_dscnt 0x3
	v_dual_mul_f32 v87, v39, v25 :: v_dual_add_nc_u32 v16, 0x3c0, v16
	v_mul_f32_e32 v88, v38, v25
	s_clause 0x1
	global_load_b128 v[28:31], v17, s[10:11] offset:720
	global_load_b128 v[20:23], v16, s[10:11] offset:720
	v_add_co_u32 v16, s0, 0x5a, v81
	v_add_co_u32 v17, s1, v81, -10
	s_wait_alu 0xf1ff
	v_add_co_ci_u32_e64 v18, null, 0, 0, s0
	v_add_co_ci_u32_e64 v19, null, 0, -1, s1
	s_delay_alu instid0(VALU_DEP_3)
	v_cndmask_b32_e32 v16, v17, v16, vcc_lo
	s_wait_dscnt 0x2
	v_mul_f32_e32 v90, v44, v27
	v_dual_mul_f32 v89, v45, v27 :: v_dual_fmac_f32 v88, v39, v24
	v_cndmask_b32_e32 v17, v19, v18, vcc_lo
	v_fma_f32 v38, v38, v24, -v87
	s_delay_alu instid0(VALU_DEP_3)
	v_fma_f32 v39, v44, v26, -v89
	s_wait_loadcnt_dscnt 0x101
	v_dual_mul_f32 v44, v49, v29 :: v_dual_mul_f32 v89, v46, v31
	s_wait_loadcnt 0x0
	v_dual_mul_f32 v91, v51, v21 :: v_dual_fmac_f32 v90, v45, v26
	v_mul_f32_e32 v87, v47, v31
	v_mul_f32_e32 v45, v48, v29
	v_lshlrev_b64_e32 v[16:17], 4, v[16:17]
	s_wait_dscnt 0x0
	v_dual_mul_f32 v92, v50, v21 :: v_dual_mul_f32 v93, v80, v23
	s_delay_alu instid0(VALU_DEP_3) | instskip(SKIP_1) | instid1(VALU_DEP_4)
	v_dual_mul_f32 v94, v79, v23 :: v_dual_fmac_f32 v45, v49, v28
	v_fma_f32 v44, v48, v28, -v44
	v_add_co_u32 v16, s0, s10, v16
	s_wait_alu 0xf1ff
	v_add_co_ci_u32_e64 v17, s0, s11, v17, s0
	v_fma_f32 v87, v46, v30, -v87
	v_fmac_f32_e32 v89, v47, v30
	v_fma_f32 v50, v50, v20, -v91
	global_load_b128 v[16:19], v[16:17], off offset:720
	v_dual_fmac_f32 v92, v51, v20 :: v_dual_add_f32 v47, v38, v39
	v_fma_f32 v91, v79, v22, -v93
	v_dual_fmac_f32 v94, v80, v22 :: v_dual_add_f32 v49, v41, v88
	v_add_f32_e32 v46, v40, v38
	v_dual_sub_f32 v38, v38, v39 :: v_dual_add_f32 v79, v88, v90
	v_sub_f32_e32 v51, v88, v90
	v_fma_f32 v48, -0.5, v47, v40
	s_delay_alu instid0(VALU_DEP_4)
	v_dual_add_f32 v46, v46, v39 :: v_dual_add_f32 v47, v49, v90
	v_dual_add_f32 v80, v44, v87 :: v_dual_add_f32 v39, v42, v44
	v_sub_f32_e32 v90, v45, v89
	v_fma_f32 v49, -0.5, v79, v41
	v_dual_add_f32 v88, v43, v45 :: v_dual_sub_f32 v93, v44, v87
	v_dual_add_f32 v45, v45, v89 :: v_dual_add_f32 v44, v36, v50
	v_dual_add_f32 v95, v50, v91 :: v_dual_sub_f32 v96, v92, v94
	v_dual_add_f32 v97, v37, v92 :: v_dual_add_f32 v92, v92, v94
	v_sub_f32_e32 v98, v50, v91
	s_delay_alu instid0(VALU_DEP_4)
	v_dual_fmamk_f32 v50, v51, 0x3f5db3d7, v48 :: v_dual_fmac_f32 v43, -0.5, v45
	v_dual_fmac_f32 v48, 0xbf5db3d7, v51 :: v_dual_fmamk_f32 v51, v38, 0xbf5db3d7, v49
	v_add_f32_e32 v79, v39, v87
	v_fma_f32 v42, -0.5, v80, v42
	v_add_f32_e32 v80, v88, v89
	v_dual_add_f32 v87, v44, v91 :: v_dual_add_f32 v88, v97, v94
	v_fma_f32 v36, -0.5, v95, v36
	v_fmac_f32_e32 v49, 0x3f5db3d7, v38
	ds_store_b64 v86, v[50:51] offset:800
	ds_store_b64 v86, v[48:49] offset:1600
	v_fmamk_f32 v89, v96, 0x3f5db3d7, v36
	s_wait_loadcnt 0x0
	v_mul_f32_e32 v99, v35, v17
	v_dual_mul_f32 v41, v34, v17 :: v_dual_mul_f32 v40, v77, v19
	v_dual_mul_f32 v100, v78, v19 :: v_dual_fmac_f32 v37, -0.5, v92
	s_delay_alu instid0(VALU_DEP_3) | instskip(NEXT) | instid1(VALU_DEP_3)
	v_fma_f32 v44, v34, v16, -v99
	v_dual_fmac_f32 v41, v35, v16 :: v_dual_fmac_f32 v40, v78, v18
	s_delay_alu instid0(VALU_DEP_3) | instskip(SKIP_2) | instid1(VALU_DEP_4)
	v_fma_f32 v45, v77, v18, -v100
	v_fmamk_f32 v77, v90, 0x3f5db3d7, v42
	v_fmac_f32_e32 v42, 0xbf5db3d7, v90
	v_dual_fmamk_f32 v90, v98, 0xbf5db3d7, v37 :: v_dual_add_f32 v35, v41, v40
	s_delay_alu instid0(VALU_DEP_4) | instskip(SKIP_1) | instid1(VALU_DEP_3)
	v_dual_add_f32 v34, v44, v45 :: v_dual_fmac_f32 v37, 0x3f5db3d7, v98
	v_dual_sub_f32 v92, v44, v45 :: v_dual_sub_f32 v91, v41, v40
	v_fma_f32 v39, -0.5, v35, v33
	s_delay_alu instid0(VALU_DEP_3) | instskip(SKIP_2) | instid1(VALU_DEP_4)
	v_fma_f32 v38, -0.5, v34, v32
	v_fmamk_f32 v78, v93, 0xbf5db3d7, v43
	v_fmac_f32_e32 v43, 0x3f5db3d7, v93
	v_dual_fmac_f32 v36, 0xbf5db3d7, v96 :: v_dual_fmamk_f32 v35, v92, 0xbf5db3d7, v39
	s_delay_alu instid0(VALU_DEP_4)
	v_fmamk_f32 v34, v91, 0x3f5db3d7, v38
	v_fmac_f32_e32 v38, 0xbf5db3d7, v91
	v_fmac_f32_e32 v39, 0x3f5db3d7, v92
	ds_store_2addr_b64 v82, v[46:47], v[79:80] offset1:30
	ds_store_b64 v86, v[77:78] offset:1040
	ds_store_b64 v86, v[42:43] offset:1840
	ds_store_2addr_b64 v82, v[87:88], v[89:90] offset0:60 offset1:160
	ds_store_b64 v82, v[36:37] offset:2080
	s_and_saveexec_b32 s0, vcc_lo
	s_cbranch_execz .LBB0_5
; %bb.4:
	v_dual_add_f32 v33, v33, v41 :: v_dual_add_f32 v32, v32, v44
	s_delay_alu instid0(VALU_DEP_1) | instskip(NEXT) | instid1(VALU_DEP_2)
	v_dual_add_f32 v33, v33, v40 :: v_dual_add_nc_u32 v36, 0x400, v86
	v_add_f32_e32 v32, v32, v45
	ds_store_b64 v82, v[32:33] offset:720
	ds_store_2addr_b64 v36, v[34:35], v[38:39] offset0:62 offset1:162
.LBB0_5:
	s_wait_alu 0xfffe
	s_or_b32 exec_lo, exec_lo, s0
	s_add_nc_u64 s[0:1], s[8:9], 0x960
	global_wb scope:SCOPE_SE
	s_wait_dscnt 0x0
	s_barrier_signal -1
	s_barrier_wait -1
	global_inv scope:SCOPE_SE
	s_clause 0x9
	global_load_b64 v[32:33], v[75:76], off offset:2400
	global_load_b64 v[36:37], v84, s[0:1] offset:240
	global_load_b64 v[79:80], v84, s[0:1] offset:480
	;; [unrolled: 1-line block ×9, first 2 shown]
	ds_load_2addr_b64 v[40:43], v82 offset1:30
	ds_load_2addr_b64 v[44:47], v82 offset0:60 offset1:90
	ds_load_2addr_b64 v[48:51], v82 offset0:120 offset1:150
	s_wait_loadcnt_dscnt 0x902
	v_dual_mul_f32 v105, v40, v33 :: v_dual_add_nc_u32 v84, 0x400, v82
	ds_load_2addr_b64 v[75:78], v82 offset0:180 offset1:210
	ds_load_2addr_b64 v[87:90], v84 offset0:112 offset1:142
	v_mul_f32_e32 v106, v41, v33
	s_wait_loadcnt_dscnt 0x703
	v_dual_mul_f32 v107, v43, v37 :: v_dual_mul_f32 v108, v45, v80
	s_wait_loadcnt_dscnt 0x502
	v_dual_mul_f32 v33, v42, v37 :: v_dual_mul_f32 v110, v49, v94
	v_mul_f32_e32 v37, v44, v80
	v_mul_f32_e32 v109, v47, v92
	;; [unrolled: 1-line block ×3, first 2 shown]
	s_wait_loadcnt 0x4
	v_dual_mul_f32 v92, v48, v94 :: v_dual_mul_f32 v111, v51, v96
	v_mul_f32_e32 v94, v50, v96
	v_fmac_f32_e32 v33, v43, v36
	v_fmac_f32_e32 v37, v45, v79
	s_delay_alu instid0(VALU_DEP_4)
	v_fmac_f32_e32 v92, v49, v93
	v_dual_fmac_f32 v105, v41, v32 :: v_dual_fmac_f32 v80, v47, v91
	v_fmac_f32_e32 v94, v51, v95
	s_wait_loadcnt_dscnt 0x301
	v_mul_f32_e32 v112, v76, v98
	s_wait_loadcnt 0x2
	v_dual_mul_f32 v96, v75, v98 :: v_dual_mul_f32 v113, v78, v100
	v_mul_f32_e32 v98, v77, v100
	s_wait_loadcnt_dscnt 0x0
	v_dual_mul_f32 v114, v88, v102 :: v_dual_mul_f32 v115, v90, v104
	v_mul_f32_e32 v100, v87, v102
	v_mul_f32_e32 v102, v89, v104
	v_fma_f32 v104, v40, v32, -v106
	v_fma_f32 v32, v42, v36, -v107
	;; [unrolled: 1-line block ×7, first 2 shown]
	v_fmac_f32_e32 v96, v76, v97
	v_fma_f32 v97, v77, v99, -v113
	v_fmac_f32_e32 v98, v78, v99
	v_fma_f32 v99, v87, v101, -v114
	;; [unrolled: 2-line block ×3, first 2 shown]
	v_fmac_f32_e32 v102, v90, v103
	ds_store_2addr_b64 v82, v[104:105], v[32:33] offset1:30
	ds_store_2addr_b64 v82, v[36:37], v[79:80] offset0:60 offset1:90
	ds_store_2addr_b64 v82, v[91:92], v[93:94] offset0:120 offset1:150
	;; [unrolled: 1-line block ×4, first 2 shown]
	global_wb scope:SCOPE_SE
	s_wait_dscnt 0x0
	s_barrier_signal -1
	s_barrier_wait -1
	global_inv scope:SCOPE_SE
	ds_load_2addr_b64 v[40:43], v82 offset1:30
	ds_load_2addr_b64 v[44:47], v82 offset0:60 offset1:90
	ds_load_2addr_b64 v[48:51], v82 offset0:120 offset1:150
	;; [unrolled: 1-line block ×4, first 2 shown]
	global_wb scope:SCOPE_SE
	s_wait_dscnt 0x0
	s_barrier_signal -1
	s_barrier_wait -1
	global_inv scope:SCOPE_SE
	v_dual_add_f32 v32, v40, v44 :: v_dual_add_f32 v101, v42, v46
	v_add_f32_e32 v33, v48, v75
	v_dual_sub_f32 v79, v44, v48 :: v_dual_sub_f32 v80, v87, v75
	v_sub_f32_e32 v105, v46, v50
	v_dual_add_f32 v91, v44, v87 :: v_dual_sub_f32 v36, v45, v88
	v_sub_f32_e32 v103, v47, v90
	v_sub_f32_e32 v37, v49, v76
	v_dual_sub_f32 v92, v48, v44 :: v_dual_add_f32 v107, v46, v89
	v_dual_sub_f32 v93, v75, v87 :: v_dual_add_f32 v94, v41, v45
	v_add_f32_e32 v111, v51, v78
	v_dual_add_f32 v95, v49, v76 :: v_dual_sub_f32 v96, v48, v75
	v_add_f32_e32 v115, v47, v90
	v_dual_sub_f32 v97, v45, v49 :: v_dual_sub_f32 v98, v88, v76
	v_sub_f32_e32 v113, v47, v51
	v_add_f32_e32 v99, v45, v88
	v_dual_sub_f32 v45, v49, v45 :: v_dual_sub_f32 v100, v76, v88
	v_add_f32_e32 v102, v50, v77
	v_add_f32_e32 v32, v32, v48
	v_fma_f32 v33, -0.5, v33, v40
	v_add_f32_e32 v48, v79, v80
	v_fma_f32 v79, -0.5, v91, v40
	v_dual_sub_f32 v44, v44, v87 :: v_dual_sub_f32 v109, v77, v89
	v_dual_sub_f32 v104, v51, v78 :: v_dual_add_f32 v49, v94, v49
	v_add_f32_e32 v110, v43, v47
	v_dual_sub_f32 v114, v90, v78 :: v_dual_sub_f32 v47, v51, v47
	v_sub_f32_e32 v108, v50, v46
	v_sub_f32_e32 v116, v78, v90
	v_fma_f32 v80, -0.5, v95, v41
	v_add_f32_e32 v91, v97, v98
	v_fma_f32 v95, -0.5, v111, v43
	v_dual_fmac_f32 v43, -0.5, v115 :: v_dual_sub_f32 v112, v50, v77
	v_add_f32_e32 v97, v113, v114
	v_fmamk_f32 v98, v37, 0x3f737871, v79
	v_dual_fmac_f32 v79, 0xbf737871, v37 :: v_dual_add_f32 v32, v32, v75
	v_add_f32_e32 v49, v49, v76
	v_fmamk_f32 v75, v36, 0xbf737871, v33
	v_dual_add_f32 v40, v92, v93 :: v_dual_add_f32 v47, v47, v116
	v_fma_f32 v92, -0.5, v99, v41
	v_add_f32_e32 v41, v45, v100
	v_add_f32_e32 v45, v101, v50
	v_fma_f32 v50, -0.5, v102, v42
	v_dual_sub_f32 v106, v89, v77 :: v_dual_add_f32 v51, v110, v51
	v_sub_f32_e32 v46, v46, v89
	v_dual_add_f32 v94, v108, v109 :: v_dual_fmac_f32 v33, 0x3f737871, v36
	v_dual_fmamk_f32 v76, v44, 0x3f737871, v80 :: v_dual_add_f32 v45, v45, v77
	v_fmamk_f32 v99, v96, 0xbf737871, v92
	v_fmac_f32_e32 v92, 0x3f737871, v96
	v_dual_fmamk_f32 v77, v103, 0xbf737871, v50 :: v_dual_add_f32 v32, v32, v87
	v_fmac_f32_e32 v50, 0x3f737871, v103
	v_fmamk_f32 v101, v112, 0xbf737871, v43
	v_fmac_f32_e32 v43, 0x3f737871, v112
	v_add_f32_e32 v93, v105, v106
	v_add_f32_e32 v51, v51, v78
	v_dual_fmac_f32 v75, 0xbf167918, v37 :: v_dual_fmac_f32 v98, 0xbf167918, v36
	v_dual_fmac_f32 v33, 0x3f167918, v37 :: v_dual_fmac_f32 v76, 0x3f167918, v96
	v_dual_add_f32 v37, v45, v89 :: v_dual_fmac_f32 v92, 0xbf167918, v44
	v_fmac_f32_e32 v43, 0xbf167918, v46
	v_fma_f32 v42, -0.5, v107, v42
	v_fmac_f32_e32 v77, 0xbf167918, v104
	v_fmac_f32_e32 v50, 0x3f167918, v104
	;; [unrolled: 1-line block ×4, first 2 shown]
	v_dual_fmac_f32 v99, 0x3f167918, v44 :: v_dual_add_f32 v44, v51, v90
	v_dual_fmac_f32 v75, 0x3e9e377a, v48 :: v_dual_fmac_f32 v76, 0x3e9e377a, v91
	v_fmac_f32_e32 v77, 0x3e9e377a, v93
	v_fmac_f32_e32 v50, 0x3e9e377a, v93
	v_mul_f32_e32 v93, 0xbe9e377a, v43
	v_fmamk_f32 v100, v104, 0x3f737871, v42
	v_fmac_f32_e32 v42, 0xbf737871, v104
	v_fmac_f32_e32 v79, 0x3f167918, v36
	v_add_f32_e32 v36, v49, v88
	v_fmamk_f32 v78, v46, 0x3f737871, v95
	v_fmac_f32_e32 v95, 0xbf737871, v46
	v_fmac_f32_e32 v101, 0x3f167918, v46
	v_dual_fmac_f32 v98, 0x3e9e377a, v40 :: v_dual_fmac_f32 v99, 0x3e9e377a, v41
	v_dual_fmac_f32 v79, 0x3e9e377a, v40 :: v_dual_fmac_f32 v92, 0x3e9e377a, v41
	s_delay_alu instid0(VALU_DEP_4) | instskip(SKIP_2) | instid1(VALU_DEP_3)
	v_dual_fmac_f32 v95, 0xbf167918, v112 :: v_dual_add_f32 v40, v32, v37
	v_dual_sub_f32 v46, v32, v37 :: v_dual_mul_f32 v37, 0xbf737871, v43
	v_fmac_f32_e32 v42, 0x3f167918, v103
	v_fmac_f32_e32 v95, 0x3e9e377a, v97
	v_add_f32_e32 v41, v36, v44
	v_fmac_f32_e32 v78, 0x3f167918, v112
	s_delay_alu instid0(VALU_DEP_4) | instskip(NEXT) | instid1(VALU_DEP_2)
	v_dual_fmac_f32 v101, 0x3e9e377a, v47 :: v_dual_fmac_f32 v42, 0x3e9e377a, v94
	v_dual_sub_f32 v47, v36, v44 :: v_dual_fmac_f32 v78, 0x3e9e377a, v97
	s_delay_alu instid0(VALU_DEP_2) | instskip(SKIP_2) | instid1(VALU_DEP_3)
	v_fmac_f32_e32 v93, 0x3f737871, v42
	v_fmac_f32_e32 v100, 0xbf167918, v103
	;; [unrolled: 1-line block ×3, first 2 shown]
	v_dual_mul_f32 v32, 0xbf167918, v78 :: v_dual_add_f32 v51, v92, v93
	s_delay_alu instid0(VALU_DEP_3) | instskip(SKIP_1) | instid1(VALU_DEP_4)
	v_fmac_f32_e32 v100, 0x3e9e377a, v94
	v_mul_f32_e32 v90, 0x3f167918, v77
	v_dual_mul_f32 v94, 0xbf4f1bbd, v95 :: v_dual_sub_f32 v87, v79, v37
	s_delay_alu instid0(VALU_DEP_2) | instskip(SKIP_1) | instid1(VALU_DEP_3)
	v_fmac_f32_e32 v90, 0x3f4f1bbd, v78
	v_fmac_f32_e32 v80, 0xbf167918, v96
	;; [unrolled: 1-line block ×3, first 2 shown]
	s_delay_alu instid0(VALU_DEP_3) | instskip(NEXT) | instid1(VALU_DEP_3)
	v_add_f32_e32 v43, v76, v90
	v_dual_fmac_f32 v33, 0x3e9e377a, v48 :: v_dual_fmac_f32 v80, 0x3e9e377a, v91
	v_mul_f32_e32 v36, 0xbf737871, v101
	v_fmac_f32_e32 v32, 0x3f4f1bbd, v77
	v_mul_f32_e32 v88, 0xbf167918, v95
	v_sub_f32_e32 v76, v76, v90
	v_add_f32_e32 v45, v80, v94
	v_dual_mul_f32 v91, 0x3e9e377a, v101 :: v_dual_fmac_f32 v36, 0x3e9e377a, v100
	v_add_f32_e32 v42, v75, v32
	v_dual_sub_f32 v75, v75, v32 :: v_dual_fmac_f32 v88, 0xbf4f1bbd, v50
	v_sub_f32_e32 v90, v80, v94
	s_delay_alu instid0(VALU_DEP_4) | instskip(SKIP_1) | instid1(VALU_DEP_4)
	v_add_f32_e32 v48, v98, v36
	v_dual_fmac_f32 v91, 0x3f737871, v100 :: v_dual_add_f32 v50, v79, v37
	v_add_f32_e32 v44, v33, v88
	v_sub_f32_e32 v77, v98, v36
	v_sub_f32_e32 v89, v33, v88
	s_delay_alu instid0(VALU_DEP_4)
	v_add_f32_e32 v49, v99, v91
	v_sub_f32_e32 v78, v99, v91
	v_sub_f32_e32 v88, v92, v93
	ds_store_b128 v85, v[40:43]
	ds_store_b128 v85, v[48:51] offset:16
	ds_store_b128 v85, v[44:47] offset:32
	;; [unrolled: 1-line block ×4, first 2 shown]
	global_wb scope:SCOPE_SE
	s_wait_dscnt 0x0
	s_barrier_signal -1
	s_barrier_wait -1
	global_inv scope:SCOPE_SE
	ds_load_2addr_b64 v[40:43], v82 offset1:30
	ds_load_2addr_b64 v[44:47], v82 offset0:60 offset1:90
	ds_load_2addr_b64 v[48:51], v82 offset0:120 offset1:150
	;; [unrolled: 1-line block ×4, first 2 shown]
	global_wb scope:SCOPE_SE
	s_wait_dscnt 0x0
	s_barrier_signal -1
	s_barrier_wait -1
	global_inv scope:SCOPE_SE
	v_mul_f32_e32 v32, v13, v43
	v_mul_f32_e32 v13, v13, v42
	;; [unrolled: 1-line block ×4, first 2 shown]
	v_dual_mul_f32 v85, v3, v88 :: v_dual_mul_f32 v36, v9, v47
	v_mul_f32_e32 v91, v74, v90
	v_mul_f32_e32 v9, v9, v46
	;; [unrolled: 1-line block ×5, first 2 shown]
	v_dual_mul_f32 v5, v5, v50 :: v_dual_mul_f32 v80, v7, v76
	v_dual_mul_f32 v7, v7, v75 :: v_dual_mul_f32 v84, v1, v78
	v_mul_f32_e32 v3, v3, v87
	v_dual_mul_f32 v1, v1, v77 :: v_dual_fmac_f32 v32, v12, v42
	v_dual_mul_f32 v74, v74, v89 :: v_dual_fmac_f32 v79, v4, v50
	v_fma_f32 v12, v12, v43, -v13
	v_dual_fmac_f32 v33, v14, v44 :: v_dual_fmac_f32 v36, v8, v46
	v_fma_f32 v13, v14, v45, -v15
	v_fma_f32 v8, v8, v47, -v9
	v_dual_fmac_f32 v37, v10, v48 :: v_dual_fmac_f32 v84, v0, v77
	v_fma_f32 v9, v10, v49, -v11
	;; [unrolled: 3-line block ×3, first 2 shown]
	v_fmac_f32_e32 v85, v2, v87
	v_fma_f32 v0, v0, v78, -v1
	s_delay_alu instid0(VALU_DEP_4)
	v_add_f32_e32 v6, v37, v80
	v_fma_f32 v1, v2, v88, -v3
	v_fma_f32 v2, v73, v90, -v74
	v_dual_add_f32 v3, v40, v33 :: v_dual_sub_f32 v14, v85, v80
	v_dual_sub_f32 v10, v9, v5 :: v_dual_add_f32 v51, v32, v36
	v_dual_sub_f32 v11, v33, v37 :: v_dual_sub_f32 v76, v36, v79
	v_dual_add_f32 v15, v33, v85 :: v_dual_add_f32 v78, v36, v91
	v_dual_sub_f32 v42, v37, v33 :: v_dual_add_f32 v73, v79, v84
	v_dual_sub_f32 v43, v80, v85 :: v_dual_sub_f32 v46, v37, v80
	v_dual_add_f32 v44, v41, v13 :: v_dual_sub_f32 v75, v4, v0
	v_dual_sub_f32 v7, v13, v1 :: v_dual_sub_f32 v74, v8, v2
	v_dual_add_f32 v45, v9, v5 :: v_dual_sub_f32 v88, v84, v91
	v_dual_sub_f32 v33, v33, v85 :: v_dual_add_f32 v90, v4, v0
	v_sub_f32_e32 v47, v13, v9
	v_dual_sub_f32 v48, v1, v5 :: v_dual_sub_f32 v77, v91, v84
	v_dual_add_f32 v49, v13, v1 :: v_dual_sub_f32 v92, v79, v84
	v_dual_sub_f32 v13, v9, v13 :: v_dual_sub_f32 v94, v2, v0
	v_dual_sub_f32 v50, v5, v1 :: v_dual_sub_f32 v87, v79, v36
	v_add_f32_e32 v89, v12, v8
	v_sub_f32_e32 v36, v36, v91
	v_sub_f32_e32 v93, v8, v4
	v_add_f32_e32 v95, v8, v2
	v_dual_sub_f32 v8, v4, v8 :: v_dual_add_f32 v3, v3, v37
	v_sub_f32_e32 v96, v0, v2
	v_fma_f32 v37, -0.5, v6, v40
	v_dual_add_f32 v6, v11, v14 :: v_dual_add_f32 v11, v42, v43
	v_fma_f32 v15, -0.5, v15, v40
	v_dual_add_f32 v9, v44, v9 :: v_dual_add_f32 v42, v51, v79
	v_fma_f32 v43, -0.5, v73, v32
	v_fmac_f32_e32 v32, -0.5, v78
	v_fma_f32 v40, -0.5, v45, v41
	v_add_f32_e32 v14, v47, v48
	v_fma_f32 v41, -0.5, v49, v41
	v_dual_add_f32 v13, v13, v50 :: v_dual_add_f32 v44, v76, v77
	v_dual_add_f32 v4, v89, v4 :: v_dual_fmamk_f32 v49, v7, 0xbf737871, v37
	v_fma_f32 v47, -0.5, v90, v12
	v_dual_fmac_f32 v12, -0.5, v95 :: v_dual_add_f32 v3, v3, v80
	v_dual_fmamk_f32 v50, v10, 0x3f737871, v15 :: v_dual_add_f32 v5, v9, v5
	v_add_f32_e32 v9, v42, v84
	s_delay_alu instid0(VALU_DEP_3) | instskip(SKIP_3) | instid1(VALU_DEP_4)
	v_dual_fmamk_f32 v42, v74, 0xbf737871, v43 :: v_dual_fmamk_f32 v77, v92, 0xbf737871, v12
	v_fmac_f32_e32 v15, 0xbf737871, v10
	v_dual_fmamk_f32 v51, v33, 0x3f737871, v40 :: v_dual_add_f32 v0, v4, v0
	v_fmac_f32_e32 v40, 0xbf737871, v33
	v_dual_fmac_f32 v49, 0xbf167918, v10 :: v_dual_fmac_f32 v42, 0xbf167918, v75
	v_dual_add_f32 v8, v8, v96 :: v_dual_fmac_f32 v37, 0x3f737871, v7
	v_fmamk_f32 v73, v46, 0xbf737871, v41
	v_dual_fmac_f32 v41, 0x3f737871, v46 :: v_dual_fmamk_f32 v76, v75, 0x3f737871, v32
	v_dual_fmac_f32 v43, 0x3f737871, v74 :: v_dual_fmac_f32 v12, 0x3f737871, v92
	v_fmac_f32_e32 v32, 0xbf737871, v75
	v_fmac_f32_e32 v15, 0x3f167918, v7
	v_dual_add_f32 v5, v5, v1 :: v_dual_fmac_f32 v40, 0xbf167918, v46
	v_dual_fmac_f32 v49, 0x3e9e377a, v6 :: v_dual_fmac_f32 v42, 0x3e9e377a, v44
	v_fmac_f32_e32 v77, 0x3f167918, v36
	v_dual_add_f32 v45, v87, v88 :: v_dual_add_f32 v48, v93, v94
	v_dual_fmamk_f32 v4, v36, 0x3f737871, v47 :: v_dual_add_f32 v3, v3, v85
	v_fmac_f32_e32 v50, 0xbf167918, v7
	v_fmac_f32_e32 v37, 0x3f167918, v10
	v_dual_fmac_f32 v41, 0xbf167918, v33 :: v_dual_fmac_f32 v76, 0xbf167918, v74
	v_dual_add_f32 v7, v9, v91 :: v_dual_fmac_f32 v12, 0xbf167918, v36
	v_fmac_f32_e32 v51, 0x3f167918, v46
	v_fmac_f32_e32 v32, 0x3f167918, v74
	v_dual_fmac_f32 v15, 0x3e9e377a, v11 :: v_dual_fmac_f32 v40, 0x3e9e377a, v14
	v_fmac_f32_e32 v77, 0x3e9e377a, v8
	v_dual_add_f32 v9, v0, v2 :: v_dual_fmac_f32 v50, 0x3e9e377a, v11
	v_fmac_f32_e32 v4, 0x3f167918, v92
	v_dual_fmac_f32 v37, 0x3e9e377a, v6 :: v_dual_fmac_f32 v76, 0x3e9e377a, v45
	v_dual_fmac_f32 v41, 0x3e9e377a, v13 :: v_dual_fmac_f32 v12, 0x3e9e377a, v8
	v_dual_sub_f32 v2, v3, v7 :: v_dual_fmac_f32 v51, 0x3e9e377a, v14
	v_fmac_f32_e32 v32, 0x3e9e377a, v45
	v_mul_f32_e32 v14, 0xbf737871, v77
	v_fmac_f32_e32 v4, 0x3e9e377a, v48
	v_dual_fmac_f32 v47, 0xbf737871, v36 :: v_dual_add_f32 v0, v3, v7
	s_delay_alu instid0(VALU_DEP_3) | instskip(SKIP_2) | instid1(VALU_DEP_3)
	v_dual_sub_f32 v3, v5, v9 :: v_dual_fmac_f32 v14, 0x3e9e377a, v76
	v_fmac_f32_e32 v73, 0x3f167918, v33
	v_mul_f32_e32 v33, 0xbf737871, v12
	v_dual_mul_f32 v45, 0x3f4f1bbd, v4 :: v_dual_add_f32 v6, v50, v14
	s_delay_alu instid0(VALU_DEP_3) | instskip(SKIP_1) | instid1(VALU_DEP_4)
	v_fmac_f32_e32 v73, 0x3e9e377a, v13
	v_mul_f32_e32 v13, 0xbf167918, v4
	v_fmac_f32_e32 v33, 0xbe9e377a, v32
	v_dual_fmac_f32 v47, 0xbf167918, v92 :: v_dual_sub_f32 v14, v50, v14
	v_fmac_f32_e32 v45, 0x3f167918, v42
	s_delay_alu instid0(VALU_DEP_4) | instskip(NEXT) | instid1(VALU_DEP_4)
	v_fmac_f32_e32 v13, 0x3f4f1bbd, v42
	v_dual_fmac_f32 v43, 0x3f167918, v75 :: v_dual_add_f32 v8, v15, v33
	s_delay_alu instid0(VALU_DEP_4) | instskip(SKIP_1) | instid1(VALU_DEP_3)
	v_dual_fmac_f32 v47, 0x3e9e377a, v48 :: v_dual_sub_f32 v36, v15, v33
	v_mul_f32_e32 v46, 0x3e9e377a, v77
	v_dual_add_f32 v4, v49, v13 :: v_dual_fmac_f32 v43, 0x3e9e377a, v44
	s_delay_alu instid0(VALU_DEP_3) | instskip(NEXT) | instid1(VALU_DEP_3)
	v_dual_add_f32 v1, v5, v9 :: v_dual_mul_f32 v44, 0xbf167918, v47
	v_fmac_f32_e32 v46, 0x3f737871, v76
	v_dual_mul_f32 v48, 0xbe9e377a, v12 :: v_dual_add_f32 v5, v51, v45
	s_delay_alu instid0(VALU_DEP_2) | instskip(SKIP_1) | instid1(VALU_DEP_3)
	v_dual_fmac_f32 v44, 0xbf4f1bbd, v43 :: v_dual_add_f32 v7, v73, v46
	v_mul_f32_e32 v47, 0xbf4f1bbd, v47
	v_fmac_f32_e32 v48, 0x3f737871, v32
	s_delay_alu instid0(VALU_DEP_3) | instskip(NEXT) | instid1(VALU_DEP_3)
	v_add_f32_e32 v10, v37, v44
	v_dual_sub_f32 v32, v37, v44 :: v_dual_fmac_f32 v47, 0x3f167918, v43
	v_sub_f32_e32 v12, v49, v13
	v_sub_f32_e32 v13, v51, v45
	v_add_f32_e32 v9, v41, v48
	v_sub_f32_e32 v37, v41, v48
	v_add_f32_e32 v11, v40, v47
	v_sub_f32_e32 v15, v73, v46
	v_dual_sub_f32 v33, v40, v47 :: v_dual_add_nc_u32 v40, 0x1e0, v82
	ds_store_2addr_b64 v83, v[0:1], v[4:5] offset1:10
	ds_store_2addr_b64 v83, v[6:7], v[8:9] offset0:20 offset1:30
	ds_store_2addr_b64 v83, v[10:11], v[2:3] offset0:40 offset1:50
	;; [unrolled: 1-line block ×4, first 2 shown]
	global_wb scope:SCOPE_SE
	s_wait_dscnt 0x0
	s_barrier_signal -1
	s_barrier_wait -1
	global_inv scope:SCOPE_SE
	ds_load_2addr_b64 v[4:7], v82 offset1:30
	ds_load_2addr_b64 v[0:3], v82 offset0:60 offset1:100
	ds_load_2addr_b64 v[12:15], v82 offset0:200 offset1:230
	ds_load_2addr_b64 v[8:11], v82 offset0:130 offset1:160
	ds_load_b64 v[36:37], v82 offset:2080
	s_and_saveexec_b32 s0, vcc_lo
	s_cbranch_execz .LBB0_7
; %bb.6:
	ds_load_2addr_b64 v[32:35], v82 offset0:90 offset1:190
	ds_load_b64 v[38:39], v82 offset:2320
.LBB0_7:
	s_wait_alu 0xfffe
	s_or_b32 exec_lo, exec_lo, s0
	s_wait_dscnt 0x2
	v_dual_mul_f32 v41, v25, v3 :: v_dual_mul_f32 v42, v27, v13
	v_mul_f32_e32 v25, v25, v2
	v_mul_f32_e32 v27, v27, v12
	s_wait_dscnt 0x1
	s_delay_alu instid0(VALU_DEP_3)
	v_dual_fmac_f32 v41, v24, v2 :: v_dual_mul_f32 v2, v29, v8
	v_fmac_f32_e32 v42, v26, v12
	v_fma_f32 v3, v24, v3, -v25
	v_mul_f32_e32 v24, v29, v9
	v_fma_f32 v12, v26, v13, -v27
	v_mul_f32_e32 v13, v31, v15
	;; [unrolled: 2-line block ×3, first 2 shown]
	v_fmac_f32_e32 v24, v28, v8
	v_mul_f32_e32 v8, v31, v14
	v_dual_mul_f32 v26, v21, v11 :: v_dual_fmac_f32 v13, v30, v14
	v_add_f32_e32 v9, v4, v41
	s_delay_alu instid0(VALU_DEP_3)
	v_fma_f32 v14, v30, v15, -v8
	s_wait_dscnt 0x0
	v_mul_f32_e32 v8, v23, v36
	v_dual_mul_f32 v15, v23, v37 :: v_dual_fmac_f32 v26, v20, v10
	v_fma_f32 v20, v20, v11, -v2
	v_sub_f32_e32 v11, v41, v42
	v_add_f32_e32 v2, v41, v42
	v_fma_f32 v21, v22, v37, -v8
	v_add_f32_e32 v8, v3, v12
	v_sub_f32_e32 v10, v3, v12
	v_fmac_f32_e32 v15, v22, v36
	v_fma_f32 v2, -0.5, v2, v4
	v_dual_add_f32 v4, v9, v42 :: v_dual_add_f32 v23, v7, v25
	v_add_f32_e32 v9, v5, v3
	v_fma_f32 v3, -0.5, v8, v5
	s_delay_alu instid0(VALU_DEP_2) | instskip(NEXT) | instid1(VALU_DEP_2)
	v_add_f32_e32 v5, v9, v12
	v_fmamk_f32 v9, v11, 0x3f5db3d7, v3
	v_dual_fmac_f32 v3, 0xbf5db3d7, v11 :: v_dual_fmamk_f32 v8, v10, 0xbf5db3d7, v2
	v_add_f32_e32 v11, v25, v14
	v_fmac_f32_e32 v2, 0x3f5db3d7, v10
	v_add_f32_e32 v10, v24, v13
	v_add_f32_e32 v12, v6, v24
	s_delay_alu instid0(VALU_DEP_4) | instskip(SKIP_1) | instid1(VALU_DEP_4)
	v_dual_sub_f32 v24, v24, v13 :: v_dual_fmac_f32 v7, -0.5, v11
	v_sub_f32_e32 v22, v25, v14
	v_fma_f32 v6, -0.5, v10, v6
	v_add_f32_e32 v11, v23, v14
	v_dual_add_f32 v25, v1, v20 :: v_dual_add_f32 v10, v12, v13
	v_fmamk_f32 v13, v24, 0x3f5db3d7, v7
	s_delay_alu instid0(VALU_DEP_4) | instskip(SKIP_3) | instid1(VALU_DEP_1)
	v_dual_fmac_f32 v7, 0xbf5db3d7, v24 :: v_dual_fmamk_f32 v12, v22, 0xbf5db3d7, v6
	v_add_f32_e32 v23, v0, v26
	v_fmac_f32_e32 v6, 0x3f5db3d7, v22
	v_add_f32_e32 v22, v20, v21
	v_dual_add_f32 v14, v26, v15 :: v_dual_fmac_f32 v1, -0.5, v22
	s_delay_alu instid0(VALU_DEP_1) | instskip(SKIP_3) | instid1(VALU_DEP_3)
	v_fma_f32 v0, -0.5, v14, v0
	v_sub_f32_e32 v22, v26, v15
	v_sub_f32_e32 v24, v20, v21
	v_dual_add_f32 v14, v23, v15 :: v_dual_add_f32 v15, v25, v21
	v_fmamk_f32 v21, v22, 0x3f5db3d7, v1
	s_delay_alu instid0(VALU_DEP_3)
	v_dual_fmac_f32 v1, 0xbf5db3d7, v22 :: v_dual_fmamk_f32 v20, v24, 0xbf5db3d7, v0
	v_fmac_f32_e32 v0, 0x3f5db3d7, v24
	ds_store_b64 v82, v[4:5]
	ds_store_b64 v86, v[8:9] offset:800
	ds_store_b64 v86, v[2:3] offset:1600
	;; [unrolled: 1-line block ×6, first 2 shown]
	ds_store_2addr_b64 v40, v[20:21], v[0:1] offset0:100 offset1:200
	s_and_saveexec_b32 s0, vcc_lo
	s_cbranch_execz .LBB0_9
; %bb.8:
	v_dual_mul_f32 v1, v19, v38 :: v_dual_mul_f32 v2, v17, v35
	v_mul_f32_e32 v6, v19, v39
	s_delay_alu instid0(VALU_DEP_2) | instskip(NEXT) | instid1(VALU_DEP_3)
	v_fma_f32 v3, v18, v39, -v1
	v_fmac_f32_e32 v2, v16, v34
	s_delay_alu instid0(VALU_DEP_3) | instskip(NEXT) | instid1(VALU_DEP_1)
	v_fmac_f32_e32 v6, v18, v38
	v_sub_f32_e32 v7, v2, v6
	v_mul_f32_e32 v0, v17, v34
	s_delay_alu instid0(VALU_DEP_1) | instskip(NEXT) | instid1(VALU_DEP_1)
	v_fma_f32 v0, v16, v35, -v0
	v_add_f32_e32 v1, v0, v3
	v_dual_add_f32 v5, v33, v0 :: v_dual_sub_f32 v8, v0, v3
	s_delay_alu instid0(VALU_DEP_2) | instskip(NEXT) | instid1(VALU_DEP_2)
	v_fma_f32 v1, -0.5, v1, v33
	v_dual_add_f32 v3, v5, v3 :: v_dual_add_f32 v4, v2, v6
	s_delay_alu instid0(VALU_DEP_2) | instskip(SKIP_1) | instid1(VALU_DEP_3)
	v_dual_add_f32 v2, v32, v2 :: v_dual_fmamk_f32 v5, v7, 0xbf5db3d7, v1
	v_fmac_f32_e32 v1, 0x3f5db3d7, v7
	v_fma_f32 v0, -0.5, v4, v32
	s_delay_alu instid0(VALU_DEP_3) | instskip(SKIP_1) | instid1(VALU_DEP_3)
	v_add_f32_e32 v2, v2, v6
	v_add_nc_u32_e32 v6, 0x400, v86
	v_fmamk_f32 v4, v8, 0x3f5db3d7, v0
	v_fmac_f32_e32 v0, 0xbf5db3d7, v8
	ds_store_b64 v82, v[2:3] offset:720
	ds_store_2addr_b64 v6, v[0:1], v[4:5] offset0:62 offset1:162
.LBB0_9:
	s_wait_alu 0xfffe
	s_or_b32 exec_lo, exec_lo, s0
	global_wb scope:SCOPE_SE
	s_wait_dscnt 0x0
	s_barrier_signal -1
	s_barrier_wait -1
	global_inv scope:SCOPE_SE
	ds_load_2addr_b64 v[0:3], v82 offset1:30
	ds_load_2addr_b64 v[4:7], v82 offset0:60 offset1:90
	ds_load_2addr_b64 v[8:11], v82 offset0:120 offset1:150
	;; [unrolled: 1-line block ×3, first 2 shown]
	s_mov_b32 s0, 0xb4e81b4f
	s_mov_b32 s1, 0x3f6b4e81
	v_mad_co_u64_u32 v[16:17], null, s6, v52, 0
	v_mad_co_u64_u32 v[42:43], null, s4, v81, 0
	s_wait_dscnt 0x3
	v_dual_mul_f32 v18, v62, v1 :: v_dual_mul_f32 v21, v64, v2
	v_dual_mul_f32 v19, v62, v0 :: v_dual_mul_f32 v20, v64, v3
	s_wait_dscnt 0x2
	v_mul_f32_e32 v24, v68, v5
	s_wait_dscnt 0x1
	v_dual_mul_f32 v22, v68, v4 :: v_dual_mul_f32 v29, v58, v9
	v_dual_fmac_f32 v18, v61, v0 :: v_dual_mul_f32 v33, v60, v10
	v_fma_f32 v0, v61, v1, -v19
	v_fma_f32 v1, v63, v3, -v21
	s_wait_dscnt 0x0
	v_dual_fmac_f32 v20, v63, v2 :: v_dual_mul_f32 v35, v66, v12
	v_fma_f32 v2, v67, v5, -v22
	v_dual_mul_f32 v28, v54, v7 :: v_dual_fmac_f32 v29, v57, v8
	v_cvt_f64_f32_e32 v[22:23], v1
	v_mul_f32_e32 v1, v58, v8
	v_fmac_f32_e32 v24, v67, v4
	v_cvt_f64_f32_e32 v[4:5], v18
	v_cvt_f64_f32_e32 v[18:19], v0
	;; [unrolled: 1-line block ×3, first 2 shown]
	v_mul_f32_e32 v0, v54, v6
	v_fma_f32 v31, v57, v9, -v1
	v_cvt_f64_f32_e32 v[20:21], v20
	v_mul_f32_e32 v36, v56, v15
	v_mul_f32_e32 v34, v66, v13
	v_fma_f32 v33, v59, v11, -v33
	v_fma_f32 v35, v65, v13, -v35
	s_delay_alu instid0(VALU_DEP_4) | instskip(SKIP_3) | instid1(VALU_DEP_4)
	v_fmac_f32_e32 v36, v55, v14
	v_mul_f32_e32 v14, v56, v14
	v_fmac_f32_e32 v34, v65, v12
	v_cvt_f64_f32_e32 v[12:13], v33
	v_cvt_f64_f32_e32 v[36:37], v36
	s_delay_alu instid0(VALU_DEP_4)
	v_fma_f32 v14, v55, v15, -v14
	s_wait_alu 0xfffe
	v_mul_f64_e32 v[22:23], s[0:1], v[22:23]
	v_mul_f64_e32 v[4:5], s[0:1], v[4:5]
	;; [unrolled: 1-line block ×7, first 2 shown]
	v_cvt_f32_f64_e32 v4, v[4:5]
	v_mad_co_u64_u32 v[44:45], null, s7, v52, v[17:18]
	v_dual_mov_b32 v17, v43 :: v_dual_add_nc_u32 v2, 0x400, v82
	v_fma_f32 v30, v53, v7, -v0
	v_cvt_f32_f64_e32 v5, v[18:19]
	v_cvt_f32_f64_e32 v19, v[22:23]
	s_delay_alu instid0(VALU_DEP_4)
	v_mad_co_u64_u32 v[45:46], null, s5, v81, v[17:18]
	v_mov_b32_e32 v17, v44
	ds_load_2addr_b64 v[0:3], v2 offset0:112 offset1:142
	v_fmac_f32_e32 v28, v53, v6
	v_mul_f32_e32 v32, v60, v11
	v_cvt_f64_f32_e32 v[8:9], v30
	v_cvt_f64_f32_e32 v[30:31], v31
	v_mov_b32_e32 v43, v45
	v_lshlrev_b64_e32 v[16:17], 3, v[16:17]
	v_fmac_f32_e32 v32, v59, v10
	v_cvt_f32_f64_e32 v18, v[20:21]
	v_cvt_f32_f64_e32 v23, v[26:27]
	v_lshlrev_b64_e32 v[42:43], 3, v[42:43]
	v_cvt_f32_f64_e32 v26, v[36:37]
	v_cvt_f64_f32_e32 v[10:11], v32
	v_cvt_f64_f32_e32 v[32:33], v34
	;; [unrolled: 1-line block ×3, first 2 shown]
	v_add_co_u32 v16, vcc_lo, s2, v16
	s_wait_alu 0xfffd
	v_add_co_ci_u32_e32 v17, vcc_lo, s3, v17, vcc_lo
	s_wait_dscnt 0x0
	v_mul_f32_e32 v41, v72, v2
	v_cvt_f64_f32_e32 v[24:25], v24
	v_mul_f32_e32 v39, v70, v0
	v_cvt_f64_f32_e32 v[6:7], v28
	v_mul_f32_e32 v38, v70, v1
	v_mul_f32_e32 v40, v72, v3
	v_fma_f32 v41, v71, v3, -v41
	v_fma_f32 v15, v69, v1, -v39
	v_cvt_f64_f32_e32 v[28:29], v29
	v_fmac_f32_e32 v38, v69, v0
	v_fmac_f32_e32 v40, v71, v2
	v_cvt_f64_f32_e32 v[0:1], v14
	v_cvt_f64_f32_e32 v[14:15], v15
	v_add_co_u32 v16, vcc_lo, v16, v42
	v_cvt_f64_f32_e32 v[2:3], v38
	v_cvt_f64_f32_e32 v[38:39], v40
	v_cvt_f64_f32_e32 v[40:41], v41
	s_wait_alu 0xfffd
	v_add_co_ci_u32_e32 v17, vcc_lo, v17, v43, vcc_lo
	v_mul_f64_e32 v[8:9], s[0:1], v[8:9]
	v_mul_f64_e32 v[30:31], s[0:1], v[30:31]
	global_store_b64 v[16:17], v[4:5], off
	v_mul_f64_e32 v[10:11], s[0:1], v[10:11]
	v_mul_f64_e32 v[32:33], s[0:1], v[32:33]
	;; [unrolled: 1-line block ×11, first 2 shown]
	s_mul_u64 s[0:1], s[4:5], 0xf0
	s_wait_alu 0xfffe
	v_add_co_u32 v20, vcc_lo, v16, s0
	s_wait_alu 0xfffd
	v_add_co_ci_u32_e32 v21, vcc_lo, s1, v17, vcc_lo
	global_store_b64 v[20:21], v[18:19], off
	v_cvt_f32_f64_e32 v10, v[10:11]
	v_cvt_f32_f64_e32 v11, v[12:13]
	;; [unrolled: 1-line block ×8, first 2 shown]
	v_add_co_u32 v8, vcc_lo, v20, s0
	s_wait_alu 0xfffd
	v_add_co_ci_u32_e32 v9, vcc_lo, s1, v21, vcc_lo
	v_cvt_f32_f64_e32 v24, v[28:29]
	v_cvt_f32_f64_e32 v27, v[0:1]
	;; [unrolled: 1-line block ×3, first 2 shown]
	v_add_co_u32 v14, vcc_lo, v8, s0
	v_cvt_f32_f64_e32 v0, v[2:3]
	v_cvt_f32_f64_e32 v2, v[38:39]
	;; [unrolled: 1-line block ×3, first 2 shown]
	s_wait_alu 0xfffd
	v_add_co_ci_u32_e32 v15, vcc_lo, s1, v9, vcc_lo
	v_add_co_u32 v28, vcc_lo, v14, s0
	s_wait_alu 0xfffd
	s_delay_alu instid0(VALU_DEP_2) | instskip(NEXT) | instid1(VALU_DEP_2)
	v_add_co_ci_u32_e32 v29, vcc_lo, s1, v15, vcc_lo
	v_add_co_u32 v4, vcc_lo, v28, s0
	s_wait_alu 0xfffd
	s_delay_alu instid0(VALU_DEP_2) | instskip(NEXT) | instid1(VALU_DEP_2)
	v_add_co_ci_u32_e32 v5, vcc_lo, s1, v29, vcc_lo
	v_add_co_u32 v16, vcc_lo, v4, s0
	s_wait_alu 0xfffd
	s_delay_alu instid0(VALU_DEP_2)
	v_add_co_ci_u32_e32 v17, vcc_lo, s1, v5, vcc_lo
	global_store_b64 v[8:9], v[22:23], off
	v_add_co_u32 v8, vcc_lo, v16, s0
	s_wait_alu 0xfffd
	v_add_co_ci_u32_e32 v9, vcc_lo, s1, v17, vcc_lo
	global_store_b64 v[14:15], v[6:7], off
	v_add_co_u32 v6, vcc_lo, v8, s0
	s_wait_alu 0xfffd
	;; [unrolled: 4-line block ×3, first 2 shown]
	v_add_co_ci_u32_e32 v15, vcc_lo, s1, v7, vcc_lo
	global_store_b64 v[4:5], v[10:11], off
	global_store_b64 v[16:17], v[12:13], off
	global_store_b64 v[8:9], v[26:27], off
	global_store_b64 v[6:7], v[0:1], off
	global_store_b64 v[14:15], v[2:3], off
.LBB0_10:
	s_nop 0
	s_sendmsg sendmsg(MSG_DEALLOC_VGPRS)
	s_endpgm
	.section	.rodata,"a",@progbits
	.p2align	6, 0x0
	.amdhsa_kernel bluestein_single_back_len300_dim1_sp_op_CI_CI
		.amdhsa_group_segment_fixed_size 4800
		.amdhsa_private_segment_fixed_size 0
		.amdhsa_kernarg_size 104
		.amdhsa_user_sgpr_count 2
		.amdhsa_user_sgpr_dispatch_ptr 0
		.amdhsa_user_sgpr_queue_ptr 0
		.amdhsa_user_sgpr_kernarg_segment_ptr 1
		.amdhsa_user_sgpr_dispatch_id 0
		.amdhsa_user_sgpr_private_segment_size 0
		.amdhsa_wavefront_size32 1
		.amdhsa_uses_dynamic_stack 0
		.amdhsa_enable_private_segment 0
		.amdhsa_system_sgpr_workgroup_id_x 1
		.amdhsa_system_sgpr_workgroup_id_y 0
		.amdhsa_system_sgpr_workgroup_id_z 0
		.amdhsa_system_sgpr_workgroup_info 0
		.amdhsa_system_vgpr_workitem_id 0
		.amdhsa_next_free_vgpr 117
		.amdhsa_next_free_sgpr 20
		.amdhsa_reserve_vcc 1
		.amdhsa_float_round_mode_32 0
		.amdhsa_float_round_mode_16_64 0
		.amdhsa_float_denorm_mode_32 3
		.amdhsa_float_denorm_mode_16_64 3
		.amdhsa_fp16_overflow 0
		.amdhsa_workgroup_processor_mode 1
		.amdhsa_memory_ordered 1
		.amdhsa_forward_progress 0
		.amdhsa_round_robin_scheduling 0
		.amdhsa_exception_fp_ieee_invalid_op 0
		.amdhsa_exception_fp_denorm_src 0
		.amdhsa_exception_fp_ieee_div_zero 0
		.amdhsa_exception_fp_ieee_overflow 0
		.amdhsa_exception_fp_ieee_underflow 0
		.amdhsa_exception_fp_ieee_inexact 0
		.amdhsa_exception_int_div_zero 0
	.end_amdhsa_kernel
	.text
.Lfunc_end0:
	.size	bluestein_single_back_len300_dim1_sp_op_CI_CI, .Lfunc_end0-bluestein_single_back_len300_dim1_sp_op_CI_CI
                                        ; -- End function
	.section	.AMDGPU.csdata,"",@progbits
; Kernel info:
; codeLenInByte = 8804
; NumSgprs: 22
; NumVgprs: 117
; ScratchSize: 0
; MemoryBound: 0
; FloatMode: 240
; IeeeMode: 1
; LDSByteSize: 4800 bytes/workgroup (compile time only)
; SGPRBlocks: 2
; VGPRBlocks: 14
; NumSGPRsForWavesPerEU: 22
; NumVGPRsForWavesPerEU: 117
; Occupancy: 12
; WaveLimiterHint : 1
; COMPUTE_PGM_RSRC2:SCRATCH_EN: 0
; COMPUTE_PGM_RSRC2:USER_SGPR: 2
; COMPUTE_PGM_RSRC2:TRAP_HANDLER: 0
; COMPUTE_PGM_RSRC2:TGID_X_EN: 1
; COMPUTE_PGM_RSRC2:TGID_Y_EN: 0
; COMPUTE_PGM_RSRC2:TGID_Z_EN: 0
; COMPUTE_PGM_RSRC2:TIDIG_COMP_CNT: 0
	.text
	.p2alignl 7, 3214868480
	.fill 96, 4, 3214868480
	.type	__hip_cuid_4a69b00e51dbc47b,@object ; @__hip_cuid_4a69b00e51dbc47b
	.section	.bss,"aw",@nobits
	.globl	__hip_cuid_4a69b00e51dbc47b
__hip_cuid_4a69b00e51dbc47b:
	.byte	0                               ; 0x0
	.size	__hip_cuid_4a69b00e51dbc47b, 1

	.ident	"AMD clang version 19.0.0git (https://github.com/RadeonOpenCompute/llvm-project roc-6.4.0 25133 c7fe45cf4b819c5991fe208aaa96edf142730f1d)"
	.section	".note.GNU-stack","",@progbits
	.addrsig
	.addrsig_sym __hip_cuid_4a69b00e51dbc47b
	.amdgpu_metadata
---
amdhsa.kernels:
  - .args:
      - .actual_access:  read_only
        .address_space:  global
        .offset:         0
        .size:           8
        .value_kind:     global_buffer
      - .actual_access:  read_only
        .address_space:  global
        .offset:         8
        .size:           8
        .value_kind:     global_buffer
      - .actual_access:  read_only
        .address_space:  global
        .offset:         16
        .size:           8
        .value_kind:     global_buffer
      - .actual_access:  read_only
        .address_space:  global
        .offset:         24
        .size:           8
        .value_kind:     global_buffer
      - .actual_access:  read_only
        .address_space:  global
        .offset:         32
        .size:           8
        .value_kind:     global_buffer
      - .offset:         40
        .size:           8
        .value_kind:     by_value
      - .address_space:  global
        .offset:         48
        .size:           8
        .value_kind:     global_buffer
      - .address_space:  global
        .offset:         56
        .size:           8
        .value_kind:     global_buffer
      - .address_space:  global
        .offset:         64
        .size:           8
        .value_kind:     global_buffer
      - .address_space:  global
        .offset:         72
        .size:           8
        .value_kind:     global_buffer
      - .offset:         80
        .size:           4
        .value_kind:     by_value
      - .address_space:  global
        .offset:         88
        .size:           8
        .value_kind:     global_buffer
      - .address_space:  global
        .offset:         96
        .size:           8
        .value_kind:     global_buffer
    .group_segment_fixed_size: 4800
    .kernarg_segment_align: 8
    .kernarg_segment_size: 104
    .language:       OpenCL C
    .language_version:
      - 2
      - 0
    .max_flat_workgroup_size: 60
    .name:           bluestein_single_back_len300_dim1_sp_op_CI_CI
    .private_segment_fixed_size: 0
    .sgpr_count:     22
    .sgpr_spill_count: 0
    .symbol:         bluestein_single_back_len300_dim1_sp_op_CI_CI.kd
    .uniform_work_group_size: 1
    .uses_dynamic_stack: false
    .vgpr_count:     117
    .vgpr_spill_count: 0
    .wavefront_size: 32
    .workgroup_processor_mode: 1
amdhsa.target:   amdgcn-amd-amdhsa--gfx1201
amdhsa.version:
  - 1
  - 2
...

	.end_amdgpu_metadata
